;; amdgpu-corpus repo=ROCm/rocFFT kind=compiled arch=gfx1201 opt=O3
	.text
	.amdgcn_target "amdgcn-amd-amdhsa--gfx1201"
	.amdhsa_code_object_version 6
	.protected	fft_rtc_fwd_len336_factors_3_7_8_2_wgs_168_tpt_42_dim2_dp_op_CI_CI_sbcc_twdbase8_2step_dirReg ; -- Begin function fft_rtc_fwd_len336_factors_3_7_8_2_wgs_168_tpt_42_dim2_dp_op_CI_CI_sbcc_twdbase8_2step_dirReg
	.globl	fft_rtc_fwd_len336_factors_3_7_8_2_wgs_168_tpt_42_dim2_dp_op_CI_CI_sbcc_twdbase8_2step_dirReg
	.p2align	8
	.type	fft_rtc_fwd_len336_factors_3_7_8_2_wgs_168_tpt_42_dim2_dp_op_CI_CI_sbcc_twdbase8_2step_dirReg,@function
fft_rtc_fwd_len336_factors_3_7_8_2_wgs_168_tpt_42_dim2_dp_op_CI_CI_sbcc_twdbase8_2step_dirReg: ; @fft_rtc_fwd_len336_factors_3_7_8_2_wgs_168_tpt_42_dim2_dp_op_CI_CI_sbcc_twdbase8_2step_dirReg
; %bb.0:
	s_clause 0x1
	s_load_b128 s[4:7], s[0:1], 0x10
	s_load_b64 s[16:17], s[0:1], 0x20
	s_mov_b32 s2, ttmp9
	s_mov_b32 s3, 0
	s_mov_b64 s[14:15], 0
	s_wait_kmcnt 0x0
	s_load_b64 s[18:19], s[4:5], 0x8
	s_load_b64 s[20:21], s[6:7], 0x0
	s_wait_kmcnt 0x0
	s_add_nc_u64 s[4:5], s[18:19], -1
	s_delay_alu instid0(SALU_CYCLE_1) | instskip(NEXT) | instid1(SALU_CYCLE_1)
	s_lshr_b64 s[4:5], s[4:5], 2
	s_add_nc_u64 s[24:25], s[4:5], 1
	s_delay_alu instid0(SALU_CYCLE_1) | instskip(NEXT) | instid1(VALU_DEP_1)
	v_cmp_lt_u64_e64 s4, s[2:3], s[24:25]
	s_and_b32 vcc_lo, exec_lo, s4
	s_cbranch_vccnz .LBB0_2
; %bb.1:
	v_cvt_f32_u32_e32 v1, s24
	s_sub_co_i32 s5, 0, s24
	s_mov_b32 s15, s3
	s_delay_alu instid0(VALU_DEP_1) | instskip(NEXT) | instid1(TRANS32_DEP_1)
	v_rcp_iflag_f32_e32 v1, v1
	v_mul_f32_e32 v1, 0x4f7ffffe, v1
	s_delay_alu instid0(VALU_DEP_1) | instskip(NEXT) | instid1(VALU_DEP_1)
	v_cvt_u32_f32_e32 v1, v1
	v_readfirstlane_b32 s4, v1
	s_delay_alu instid0(VALU_DEP_1) | instskip(NEXT) | instid1(SALU_CYCLE_1)
	s_mul_i32 s5, s5, s4
	s_mul_hi_u32 s5, s4, s5
	s_delay_alu instid0(SALU_CYCLE_1) | instskip(NEXT) | instid1(SALU_CYCLE_1)
	s_add_co_i32 s4, s4, s5
	s_mul_hi_u32 s4, s2, s4
	s_delay_alu instid0(SALU_CYCLE_1) | instskip(SKIP_2) | instid1(SALU_CYCLE_1)
	s_mul_i32 s5, s4, s24
	s_add_co_i32 s8, s4, 1
	s_sub_co_i32 s5, s2, s5
	s_sub_co_i32 s9, s5, s24
	s_cmp_ge_u32 s5, s24
	s_cselect_b32 s4, s8, s4
	s_cselect_b32 s5, s9, s5
	s_add_co_i32 s8, s4, 1
	s_cmp_ge_u32 s5, s24
	s_cselect_b32 s14, s8, s4
.LBB0_2:
	s_load_b128 s[8:11], s[6:7], 0x8
	s_load_b64 s[22:23], s[0:1], 0x58
	s_clause 0x1
	s_load_b64 s[12:13], s[16:17], 0x0
	s_load_b128 s[4:7], s[16:17], 0x8
	s_mul_u64 s[16:17], s[14:15], s[24:25]
	v_lshrrev_b32_e32 v61, 2, v0
	s_sub_nc_u64 s[2:3], s[2:3], s[16:17]
	s_wait_alu 0xfffe
	s_lshl_b64 s[16:17], s[2:3], 2
	s_delay_alu instid0(SALU_CYCLE_1)
	v_dual_mov_b32 v58, s17 :: v_dual_and_b32 v59, 3, v0
	s_add_nc_u64 s[2:3], s[16:17], 4
	s_wait_alu 0xfffe
	v_cmp_gt_u64_e64 s24, s[2:3], s[18:19]
	v_cmp_le_u64_e64 s33, s[2:3], s[18:19]
	v_or_b32_e32 v57, s16, v59
	s_delay_alu instid0(VALU_DEP_3)
	s_and_b32 vcc_lo, exec_lo, s24
	s_wait_kmcnt 0x0
	s_mul_u64 s[2:3], s[16:17], s[8:9]
	s_mul_u64 s[10:11], s[10:11], s[14:15]
	s_wait_alu 0xfffe
	s_add_nc_u64 s[10:11], s[10:11], s[2:3]
	s_cbranch_vccz .LBB0_10
; %bb.3:
	s_mov_b32 s2, exec_lo
                                        ; implicit-def: $vgpr60
	v_cmpx_le_u64_e64 s[18:19], v[57:58]
	s_wait_alu 0xfffe
	s_xor_b32 s2, exec_lo, s2
; %bb.4:
	v_add_nc_u32_e32 v60, 42, v61
; %bb.5:
	s_wait_alu 0xfffe
	s_or_saveexec_b32 s2, s2
                                        ; implicit-def: $vgpr5_vgpr6
                                        ; implicit-def: $vgpr1_vgpr2
                                        ; implicit-def: $vgpr9_vgpr10
                                        ; implicit-def: $vgpr25_vgpr26
                                        ; implicit-def: $vgpr29_vgpr30
                                        ; implicit-def: $vgpr33_vgpr34
                                        ; implicit-def: $vgpr17_vgpr18
                                        ; implicit-def: $vgpr13_vgpr14
                                        ; implicit-def: $vgpr21_vgpr22
	s_wait_alu 0xfffe
	s_xor_b32 exec_lo, exec_lo, s2
	s_cbranch_execz .LBB0_9
; %bb.6:
	v_mad_co_u64_u32 v[1:2], null, s8, v59, 0
	v_mad_co_u64_u32 v[3:4], null, s20, v61, 0
	v_add_nc_u32_e32 v11, 0x70, v61
	v_add_nc_u32_e32 v12, 0xe0, v61
	;; [unrolled: 1-line block ×3, first 2 shown]
	s_lshl_b64 s[24:25], s[10:11], 4
	v_add_nc_u32_e32 v16, 0x9a, v61
	v_mad_co_u64_u32 v[5:6], null, s20, v11, 0
	v_mad_co_u64_u32 v[7:8], null, s9, v59, v[2:3]
	s_wait_alu 0xfffe
	s_add_nc_u64 s[24:25], s[22:23], s[24:25]
	v_add_nc_u32_e32 v18, 0x10a, v61
	s_mov_b32 s3, exec_lo
                                        ; implicit-def: $vgpr29_vgpr30
                                        ; implicit-def: $vgpr33_vgpr34
	s_delay_alu instid0(VALU_DEP_3) | instskip(NEXT) | instid1(VALU_DEP_4)
	v_mad_co_u64_u32 v[8:9], null, s21, v61, v[4:5]
	v_mov_b32_e32 v4, v6
	s_delay_alu instid0(VALU_DEP_4) | instskip(SKIP_1) | instid1(VALU_DEP_3)
	v_mov_b32_e32 v2, v7
	v_mad_co_u64_u32 v[9:10], null, s20, v12, 0
	v_mad_co_u64_u32 v[6:7], null, s21, v11, v[4:5]
	s_delay_alu instid0(VALU_DEP_3) | instskip(SKIP_3) | instid1(VALU_DEP_3)
	v_lshlrev_b64_e32 v[1:2], 4, v[1:2]
	v_mov_b32_e32 v4, v8
	v_mad_co_u64_u32 v[7:8], null, s20, v60, 0
	s_wait_alu 0xfffe
	v_add_co_u32 v27, vcc_lo, s24, v1
	s_delay_alu instid0(VALU_DEP_3)
	v_lshlrev_b64_e32 v[3:4], 4, v[3:4]
	v_add_co_ci_u32_e32 v28, vcc_lo, s25, v2, vcc_lo
	v_mad_co_u64_u32 v[1:2], null, s21, v12, v[10:11]
	v_mov_b32_e32 v2, v8
	v_mad_co_u64_u32 v[11:12], null, s20, v16, 0
	v_lshlrev_b64_e32 v[5:6], 4, v[5:6]
	s_delay_alu instid0(VALU_DEP_3)
	v_mad_co_u64_u32 v[13:14], null, s21, v60, v[2:3]
	v_mad_co_u64_u32 v[14:15], null, s20, v18, 0
	v_add_co_u32 v2, vcc_lo, v27, v3
	s_wait_alu 0xfffd
	v_add_co_ci_u32_e32 v3, vcc_lo, v28, v4, vcc_lo
	v_mov_b32_e32 v4, v12
	s_delay_alu instid0(VALU_DEP_4) | instskip(SKIP_1) | instid1(VALU_DEP_3)
	v_dual_mov_b32 v10, v1 :: v_dual_mov_b32 v1, v15
	v_mov_b32_e32 v8, v13
	v_mad_co_u64_u32 v[12:13], null, s21, v16, v[4:5]
	v_add_co_u32 v16, vcc_lo, v27, v5
	s_delay_alu instid0(VALU_DEP_4) | instskip(SKIP_4) | instid1(VALU_DEP_4)
	v_lshlrev_b64_e32 v[4:5], 4, v[9:10]
	v_mad_co_u64_u32 v[9:10], null, s21, v18, v[1:2]
	s_wait_alu 0xfffd
	v_add_co_ci_u32_e32 v17, vcc_lo, v28, v6, vcc_lo
	v_lshlrev_b64_e32 v[6:7], 4, v[7:8]
	v_add_co_u32 v18, vcc_lo, v27, v4
	s_wait_alu 0xfffd
	v_add_co_ci_u32_e32 v19, vcc_lo, v28, v5, vcc_lo
	v_mov_b32_e32 v15, v9
	v_lshlrev_b64_e32 v[4:5], 4, v[11:12]
	v_add_co_u32 v9, vcc_lo, v27, v6
	s_wait_alu 0xfffd
	v_add_co_ci_u32_e32 v10, vcc_lo, v28, v7, vcc_lo
	v_lshlrev_b64_e32 v[6:7], 4, v[14:15]
	s_delay_alu instid0(VALU_DEP_4) | instskip(SKIP_2) | instid1(VALU_DEP_3)
	v_add_co_u32 v11, vcc_lo, v27, v4
	s_wait_alu 0xfffd
	v_add_co_ci_u32_e32 v12, vcc_lo, v28, v5, vcc_lo
	v_add_co_u32 v25, vcc_lo, v27, v6
	s_wait_alu 0xfffd
	v_add_co_ci_u32_e32 v26, vcc_lo, v28, v7, vcc_lo
	s_clause 0x5
	global_load_b128 v[5:8], v[2:3], off
	global_load_b128 v[21:24], v[16:17], off
	;; [unrolled: 1-line block ×6, first 2 shown]
                                        ; implicit-def: $vgpr25_vgpr26
	v_cmpx_gt_u32_e32 0x70, v0
	s_cbranch_execz .LBB0_8
; %bb.7:
	v_add_nc_u32_e32 v33, 0x54, v61
	v_add_nc_u32_e32 v36, 0x134, v61
	s_delay_alu instid0(VALU_DEP_2) | instskip(NEXT) | instid1(VALU_DEP_2)
	v_mad_co_u64_u32 v[25:26], null, s20, v33, 0
	v_mad_co_u64_u32 v[31:32], null, s20, v36, 0
	s_delay_alu instid0(VALU_DEP_2) | instskip(NEXT) | instid1(VALU_DEP_1)
	v_mad_co_u64_u32 v[33:34], null, s21, v33, v[26:27]
	v_dual_mov_b32 v26, v33 :: v_dual_add_nc_u32 v35, 0xc4, v61
	s_delay_alu instid0(VALU_DEP_1) | instskip(NEXT) | instid1(VALU_DEP_2)
	v_mad_co_u64_u32 v[29:30], null, s20, v35, 0
	v_lshlrev_b64_e32 v[25:26], 4, v[25:26]
	s_delay_alu instid0(VALU_DEP_2) | instskip(SKIP_1) | instid1(VALU_DEP_3)
	v_mad_co_u64_u32 v[34:35], null, s21, v35, v[30:31]
	v_mad_co_u64_u32 v[35:36], null, s21, v36, v[32:33]
	v_add_co_u32 v25, vcc_lo, v27, v25
	s_wait_alu 0xfffd
	s_delay_alu instid0(VALU_DEP_4) | instskip(NEXT) | instid1(VALU_DEP_4)
	v_add_co_ci_u32_e32 v26, vcc_lo, v28, v26, vcc_lo
	v_mov_b32_e32 v30, v34
	s_delay_alu instid0(VALU_DEP_4) | instskip(NEXT) | instid1(VALU_DEP_2)
	v_mov_b32_e32 v32, v35
	v_lshlrev_b64_e32 v[29:30], 4, v[29:30]
	s_delay_alu instid0(VALU_DEP_2) | instskip(NEXT) | instid1(VALU_DEP_2)
	v_lshlrev_b64_e32 v[31:32], 4, v[31:32]
	v_add_co_u32 v29, vcc_lo, v27, v29
	s_wait_alu 0xfffd
	s_delay_alu instid0(VALU_DEP_3) | instskip(NEXT) | instid1(VALU_DEP_3)
	v_add_co_ci_u32_e32 v30, vcc_lo, v28, v30, vcc_lo
	v_add_co_u32 v31, vcc_lo, v27, v31
	s_wait_alu 0xfffd
	v_add_co_ci_u32_e32 v32, vcc_lo, v28, v32, vcc_lo
	s_clause 0x2
	global_load_b128 v[33:36], v[25:26], off
	global_load_b128 v[25:28], v[29:30], off
	;; [unrolled: 1-line block ×3, first 2 shown]
.LBB0_8:
	s_or_b32 exec_lo, exec_lo, s3
.LBB0_9:
	s_delay_alu instid0(SALU_CYCLE_1)
	s_or_b32 exec_lo, exec_lo, s2
	v_cmp_gt_u32_e64 s2, 0x70, v0
	s_cbranch_execz .LBB0_11
	s_branch .LBB0_14
.LBB0_10:
                                        ; implicit-def: $vgpr5_vgpr6
                                        ; implicit-def: $vgpr1_vgpr2
                                        ; implicit-def: $vgpr9_vgpr10
                                        ; implicit-def: $vgpr25_vgpr26
                                        ; implicit-def: $vgpr29_vgpr30
                                        ; implicit-def: $vgpr33_vgpr34
                                        ; implicit-def: $vgpr17_vgpr18
                                        ; implicit-def: $vgpr13_vgpr14
                                        ; implicit-def: $vgpr21_vgpr22
                                        ; implicit-def: $vgpr60
	v_cmp_gt_u32_e64 s2, 0x70, v0
.LBB0_11:
	s_wait_loadcnt 0x3
	v_mad_co_u64_u32 v[1:2], null, s8, v59, 0
	v_mad_co_u64_u32 v[3:4], null, s20, v61, 0
	s_wait_loadcnt 0x0
	v_add_nc_u32_e32 v11, 0x70, v61
	v_add_nc_u32_e32 v12, 0xe0, v61
	;; [unrolled: 1-line block ×3, first 2 shown]
	s_lshl_b64 s[10:11], s[10:11], 4
	v_add_nc_u32_e32 v16, 0x9a, v61
	v_mad_co_u64_u32 v[5:6], null, s20, v11, 0
	v_mad_co_u64_u32 v[7:8], null, s9, v59, v[2:3]
	s_add_nc_u64 s[8:9], s[22:23], s[10:11]
	v_add_nc_u32_e32 v18, 0x10a, v61
                                        ; implicit-def: $vgpr29_vgpr30
                                        ; implicit-def: $vgpr33_vgpr34
	s_delay_alu instid0(VALU_DEP_3) | instskip(NEXT) | instid1(VALU_DEP_4)
	v_mad_co_u64_u32 v[8:9], null, s21, v61, v[4:5]
	v_mov_b32_e32 v4, v6
	s_delay_alu instid0(VALU_DEP_4) | instskip(SKIP_1) | instid1(VALU_DEP_3)
	v_mov_b32_e32 v2, v7
	v_mad_co_u64_u32 v[9:10], null, s20, v12, 0
	v_mad_co_u64_u32 v[6:7], null, s21, v11, v[4:5]
	s_delay_alu instid0(VALU_DEP_3) | instskip(SKIP_3) | instid1(VALU_DEP_3)
	v_lshlrev_b64_e32 v[1:2], 4, v[1:2]
	v_mov_b32_e32 v4, v8
	v_mad_co_u64_u32 v[7:8], null, s20, v60, 0
	s_wait_alu 0xfffe
	v_add_co_u32 v27, vcc_lo, s8, v1
	s_delay_alu instid0(VALU_DEP_3)
	v_lshlrev_b64_e32 v[3:4], 4, v[3:4]
	s_wait_alu 0xfffd
	v_add_co_ci_u32_e32 v28, vcc_lo, s9, v2, vcc_lo
	v_mad_co_u64_u32 v[1:2], null, s21, v12, v[10:11]
	v_mov_b32_e32 v2, v8
	v_mad_co_u64_u32 v[11:12], null, s20, v16, 0
	v_lshlrev_b64_e32 v[5:6], 4, v[5:6]
	s_delay_alu instid0(VALU_DEP_3)
	v_mad_co_u64_u32 v[13:14], null, s21, v60, v[2:3]
	v_mad_co_u64_u32 v[14:15], null, s20, v18, 0
	v_add_co_u32 v2, vcc_lo, v27, v3
	s_wait_alu 0xfffd
	v_add_co_ci_u32_e32 v3, vcc_lo, v28, v4, vcc_lo
	v_mov_b32_e32 v4, v12
	s_delay_alu instid0(VALU_DEP_4) | instskip(SKIP_1) | instid1(VALU_DEP_3)
	v_dual_mov_b32 v10, v1 :: v_dual_mov_b32 v1, v15
	v_mov_b32_e32 v8, v13
	v_mad_co_u64_u32 v[12:13], null, s21, v16, v[4:5]
	v_add_co_u32 v16, vcc_lo, v27, v5
	s_delay_alu instid0(VALU_DEP_4) | instskip(SKIP_4) | instid1(VALU_DEP_4)
	v_lshlrev_b64_e32 v[4:5], 4, v[9:10]
	v_mad_co_u64_u32 v[9:10], null, s21, v18, v[1:2]
	s_wait_alu 0xfffd
	v_add_co_ci_u32_e32 v17, vcc_lo, v28, v6, vcc_lo
	v_lshlrev_b64_e32 v[6:7], 4, v[7:8]
	v_add_co_u32 v18, vcc_lo, v27, v4
	s_wait_alu 0xfffd
	v_add_co_ci_u32_e32 v19, vcc_lo, v28, v5, vcc_lo
	v_mov_b32_e32 v15, v9
	v_lshlrev_b64_e32 v[4:5], 4, v[11:12]
	v_add_co_u32 v9, vcc_lo, v27, v6
	s_wait_alu 0xfffd
	v_add_co_ci_u32_e32 v10, vcc_lo, v28, v7, vcc_lo
	v_lshlrev_b64_e32 v[6:7], 4, v[14:15]
	s_delay_alu instid0(VALU_DEP_4) | instskip(SKIP_2) | instid1(VALU_DEP_3)
	v_add_co_u32 v11, vcc_lo, v27, v4
	s_wait_alu 0xfffd
	v_add_co_ci_u32_e32 v12, vcc_lo, v28, v5, vcc_lo
	v_add_co_u32 v25, vcc_lo, v27, v6
	s_wait_alu 0xfffd
	v_add_co_ci_u32_e32 v26, vcc_lo, v28, v7, vcc_lo
	s_clause 0x5
	global_load_b128 v[5:8], v[2:3], off
	global_load_b128 v[21:24], v[16:17], off
	;; [unrolled: 1-line block ×6, first 2 shown]
                                        ; implicit-def: $vgpr25_vgpr26
	s_and_saveexec_b32 s3, s2
	s_cbranch_execz .LBB0_13
; %bb.12:
	v_add_nc_u32_e32 v33, 0x54, v61
	v_add_nc_u32_e32 v36, 0x134, v61
	s_delay_alu instid0(VALU_DEP_2) | instskip(NEXT) | instid1(VALU_DEP_2)
	v_mad_co_u64_u32 v[25:26], null, s20, v33, 0
	v_mad_co_u64_u32 v[31:32], null, s20, v36, 0
	s_delay_alu instid0(VALU_DEP_2) | instskip(NEXT) | instid1(VALU_DEP_1)
	v_mad_co_u64_u32 v[33:34], null, s21, v33, v[26:27]
	v_dual_mov_b32 v26, v33 :: v_dual_add_nc_u32 v35, 0xc4, v61
	s_delay_alu instid0(VALU_DEP_1) | instskip(NEXT) | instid1(VALU_DEP_2)
	v_mad_co_u64_u32 v[29:30], null, s20, v35, 0
	v_lshlrev_b64_e32 v[25:26], 4, v[25:26]
	s_delay_alu instid0(VALU_DEP_2) | instskip(SKIP_1) | instid1(VALU_DEP_3)
	v_mad_co_u64_u32 v[34:35], null, s21, v35, v[30:31]
	v_mad_co_u64_u32 v[35:36], null, s21, v36, v[32:33]
	v_add_co_u32 v25, vcc_lo, v27, v25
	s_wait_alu 0xfffd
	s_delay_alu instid0(VALU_DEP_4) | instskip(NEXT) | instid1(VALU_DEP_4)
	v_add_co_ci_u32_e32 v26, vcc_lo, v28, v26, vcc_lo
	v_mov_b32_e32 v30, v34
	s_delay_alu instid0(VALU_DEP_4) | instskip(NEXT) | instid1(VALU_DEP_2)
	v_mov_b32_e32 v32, v35
	v_lshlrev_b64_e32 v[29:30], 4, v[29:30]
	s_delay_alu instid0(VALU_DEP_2) | instskip(NEXT) | instid1(VALU_DEP_2)
	v_lshlrev_b64_e32 v[31:32], 4, v[31:32]
	v_add_co_u32 v29, vcc_lo, v27, v29
	s_wait_alu 0xfffd
	s_delay_alu instid0(VALU_DEP_3) | instskip(NEXT) | instid1(VALU_DEP_3)
	v_add_co_ci_u32_e32 v30, vcc_lo, v28, v30, vcc_lo
	v_add_co_u32 v31, vcc_lo, v27, v31
	s_wait_alu 0xfffd
	v_add_co_ci_u32_e32 v32, vcc_lo, v28, v32, vcc_lo
	s_clause 0x2
	global_load_b128 v[33:36], v[25:26], off
	global_load_b128 v[25:28], v[29:30], off
	global_load_b128 v[29:32], v[31:32], off
.LBB0_13:
	s_wait_alu 0xfffe
	s_or_b32 exec_lo, exec_lo, s3
.LBB0_14:
	s_wait_loadcnt 0x3
	v_add_f64_e32 v[37:38], v[21:22], v[1:2]
	v_add_f64_e32 v[39:40], v[23:24], v[3:4]
	s_wait_loadcnt 0x0
	v_add_f64_e32 v[45:46], v[29:30], v[25:26]
	v_add_f64_e32 v[47:48], v[31:32], v[27:28]
	;; [unrolled: 1-line block ×5, first 2 shown]
	v_add_f64_e64 v[51:52], v[23:24], -v[3:4]
	v_add_f64_e32 v[23:24], v[23:24], v[7:8]
	v_add_f64_e64 v[62:63], v[21:22], -v[1:2]
	v_add_f64_e64 v[72:73], v[27:28], -v[31:32]
	;; [unrolled: 1-line block ×3, first 2 shown]
	v_add_f64_e32 v[53:54], v[13:14], v[17:18]
	v_add_f64_e32 v[55:56], v[15:16], v[19:20]
	v_add_f64_e64 v[64:65], v[19:20], -v[11:12]
	v_add_f64_e64 v[68:69], v[17:18], -v[9:10]
	s_mov_b32 s2, 0xe8584caa
	s_mov_b32 s3, 0x3febb67a
	;; [unrolled: 1-line block ×3, first 2 shown]
	s_wait_alu 0xfffe
	s_mov_b32 s8, s2
	v_fma_f64 v[5:6], v[37:38], -0.5, v[5:6]
	v_fma_f64 v[7:8], v[39:40], -0.5, v[7:8]
	;; [unrolled: 1-line block ×6, first 2 shown]
	v_add_f64_e32 v[13:14], v[1:2], v[49:50]
	v_add_f64_e32 v[15:16], v[3:4], v[23:24]
	;; [unrolled: 1-line block ×4, first 2 shown]
	v_mad_u32_u24 v11, 0xc0, v61, 0
	v_fma_f64 v[21:22], v[51:52], s[2:3], v[5:6]
	s_wait_alu 0xfffe
	v_fma_f64 v[37:38], v[51:52], s[8:9], v[5:6]
	v_fma_f64 v[23:24], v[62:63], s[8:9], v[7:8]
	;; [unrolled: 1-line block ×11, first 2 shown]
	s_load_b64 s[2:3], s[0:1], 0x0
	s_mov_b32 s8, 0
	v_lshlrev_b32_e32 v63, 4, v59
	s_wait_alu 0xfffe
	v_mad_co_u64_u32 v[9:10], null, 0xc0, v60, s[8:9]
	s_mov_b32 s8, exec_lo
	s_delay_alu instid0(VALU_DEP_2) | instskip(NEXT) | instid1(VALU_DEP_2)
	v_add_nc_u32_e32 v10, v11, v63
	v_add_nc_u32_e32 v12, v9, v63
	ds_store_b128 v10, v[13:16]
	ds_store_b128 v10, v[21:24] offset:64
	ds_store_b128 v10, v[37:40] offset:128
	ds_store_b128 v12, v[17:20]
	ds_store_b128 v12, v[41:44] offset:64
	ds_store_b128 v12, v[45:48] offset:128
	v_cmpx_gt_u32_e32 0x70, v0
	s_cbranch_execz .LBB0_16
; %bb.15:
	v_add_f64_e32 v[12:13], v[35:36], v[27:28]
	v_add_f64_e32 v[16:17], v[33:34], v[25:26]
	v_lshl_add_u32 v10, v59, 4, v11
	s_delay_alu instid0(VALU_DEP_3) | instskip(NEXT) | instid1(VALU_DEP_3)
	v_add_f64_e32 v[14:15], v[31:32], v[12:13]
	v_add_f64_e32 v[12:13], v[29:30], v[16:17]
	ds_store_b128 v10, v[12:15] offset:16128
	ds_store_b128 v10, v[1:4] offset:16192
	;; [unrolled: 1-line block ×3, first 2 shown]
.LBB0_16:
	s_wait_alu 0xfffe
	s_or_b32 exec_lo, exec_lo, s8
	v_lshlrev_b32_e32 v10, 7, v61
	global_wb scope:SCOPE_SE
	s_wait_dscnt 0x0
	s_wait_kmcnt 0x0
	s_barrier_signal -1
	s_barrier_wait -1
	global_inv scope:SCOPE_SE
	v_sub_nc_u32_e32 v10, v11, v10
	v_cmp_gt_u32_e32 vcc_lo, 24, v0
                                        ; implicit-def: $vgpr27_vgpr28
                                        ; implicit-def: $vgpr23_vgpr24
                                        ; implicit-def: $vgpr19_vgpr20
                                        ; implicit-def: $vgpr15_vgpr16
                                        ; implicit-def: $vgpr11_vgpr12
	s_delay_alu instid0(VALU_DEP_2)
	v_lshl_add_u32 v62, v59, 4, v10
	ds_load_b128 v[29:32], v62
	ds_load_b128 v[49:52], v62 offset:3072
	ds_load_b128 v[45:48], v62 offset:6144
	;; [unrolled: 1-line block ×6, first 2 shown]
	s_and_saveexec_b32 s8, vcc_lo
	s_cbranch_execz .LBB0_18
; %bb.17:
	v_lshlrev_b32_e32 v1, 7, v60
	s_delay_alu instid0(VALU_DEP_1) | instskip(NEXT) | instid1(VALU_DEP_1)
	v_sub_nc_u32_e32 v1, v9, v1
	v_lshl_add_u32 v1, v59, 4, v1
	ds_load_b128 v[5:8], v62 offset:5760
	ds_load_b128 v[9:12], v62 offset:8832
	;; [unrolled: 1-line block ×4, first 2 shown]
	ds_load_b128 v[1:4], v1
	ds_load_b128 v[21:24], v62 offset:18048
	ds_load_b128 v[25:28], v62 offset:21120
.LBB0_18:
	s_wait_alu 0xfffe
	s_or_b32 exec_lo, exec_lo, s8
	v_mul_lo_u16 v64, 0x56, v61
	s_mov_b32 s10, 0x37e14327
	s_mov_b32 s20, 0xe976ee23
	;; [unrolled: 1-line block ×4, first 2 shown]
	v_lshrrev_b16 v100, 8, v64
	s_mov_b32 s8, 0x429ad128
	s_mov_b32 s9, 0x3febfeb5
	;; [unrolled: 1-line block ×4, first 2 shown]
	v_mul_lo_u16 v64, v100, 3
	s_mov_b32 s22, 0xaaaaaaaa
	s_mov_b32 s30, 0xb247c609
	;; [unrolled: 1-line block ×4, first 2 shown]
	v_sub_nc_u16 v64, v61, v64
	s_mov_b32 s31, 0x3fd5d0dc
	s_mov_b32 s25, 0x3fe77f67
	;; [unrolled: 1-line block ×4, first 2 shown]
	v_and_b32_e32 v101, 0xff, v64
	s_wait_alu 0xfffe
	s_mov_b32 s28, s24
	s_mov_b32 s34, s30
	;; [unrolled: 1-line block ×4, first 2 shown]
	v_mul_u32_u24_e32 v64, 6, v101
	s_delay_alu instid0(VALU_DEP_1)
	v_lshlrev_b32_e32 v84, 4, v64
	s_clause 0x5
	global_load_b128 v[64:67], v84, s[2:3]
	global_load_b128 v[68:71], v84, s[2:3] offset:16
	global_load_b128 v[72:75], v84, s[2:3] offset:80
	;; [unrolled: 1-line block ×5, first 2 shown]
	global_wb scope:SCOPE_SE
	s_wait_loadcnt_dscnt 0x0
	s_barrier_signal -1
	s_barrier_wait -1
	global_inv scope:SCOPE_SE
	v_mul_f64_e32 v[88:89], v[51:52], v[66:67]
	v_mul_f64_e32 v[66:67], v[49:50], v[66:67]
	;; [unrolled: 1-line block ×12, first 2 shown]
	v_fma_f64 v[49:50], v[49:50], v[64:65], -v[88:89]
	v_fma_f64 v[51:52], v[51:52], v[64:65], v[66:67]
	v_fma_f64 v[45:46], v[45:46], v[68:69], -v[90:91]
	v_fma_f64 v[47:48], v[47:48], v[68:69], v[70:71]
	;; [unrolled: 2-line block ×6, first 2 shown]
	v_add_f64_e32 v[64:65], v[49:50], v[53:54]
	v_add_f64_e32 v[66:67], v[51:52], v[55:56]
	;; [unrolled: 1-line block ×4, first 2 shown]
	v_add_f64_e64 v[41:42], v[45:46], -v[41:42]
	v_add_f64_e64 v[43:44], v[47:48], -v[43:44]
	v_add_f64_e32 v[45:46], v[37:38], v[33:34]
	v_add_f64_e32 v[47:48], v[39:40], v[35:36]
	v_add_f64_e64 v[33:34], v[33:34], -v[37:38]
	v_add_f64_e64 v[35:36], v[35:36], -v[39:40]
	;; [unrolled: 1-line block ×4, first 2 shown]
	v_add_f64_e32 v[49:50], v[68:69], v[64:65]
	v_add_f64_e32 v[51:52], v[70:71], v[66:67]
	v_add_f64_e64 v[53:54], v[64:65], -v[45:46]
	v_add_f64_e64 v[55:56], v[66:67], -v[47:48]
	;; [unrolled: 1-line block ×6, first 2 shown]
	v_add_f64_e32 v[41:42], v[33:34], v[41:42]
	v_add_f64_e32 v[43:44], v[35:36], v[43:44]
	v_add_f64_e64 v[33:34], v[37:38], -v[33:34]
	v_add_f64_e64 v[35:36], v[39:40], -v[35:36]
	v_add_f64_e64 v[64:65], v[68:69], -v[64:65]
	v_add_f64_e64 v[66:67], v[70:71], -v[66:67]
	v_add_f64_e32 v[49:50], v[45:46], v[49:50]
	v_add_f64_e32 v[51:52], v[47:48], v[51:52]
	v_add_f64_e64 v[45:46], v[45:46], -v[68:69]
	v_add_f64_e64 v[47:48], v[47:48], -v[70:71]
	v_mul_f64_e32 v[53:54], s[10:11], v[53:54]
	v_mul_f64_e32 v[55:56], s[10:11], v[55:56]
	;; [unrolled: 1-line block ×6, first 2 shown]
	v_add_f64_e32 v[37:38], v[41:42], v[37:38]
	v_add_f64_e32 v[39:40], v[43:44], v[39:40]
	;; [unrolled: 1-line block ×4, first 2 shown]
	v_mul_f64_e32 v[68:69], s[26:27], v[45:46]
	v_mul_f64_e32 v[70:71], s[26:27], v[47:48]
	v_fma_f64 v[41:42], v[45:46], s[26:27], v[53:54]
	v_fma_f64 v[43:44], v[47:48], s[26:27], v[55:56]
	;; [unrolled: 1-line block ×4, first 2 shown]
	v_fma_f64 v[72:73], v[76:77], s[8:9], -v[72:73]
	v_fma_f64 v[74:75], v[78:79], s[8:9], -v[74:75]
	;; [unrolled: 1-line block ×6, first 2 shown]
	v_fma_f64 v[49:50], v[49:50], s[22:23], v[29:30]
	v_fma_f64 v[51:52], v[51:52], s[22:23], v[31:32]
	v_fma_f64 v[64:65], v[64:65], s[24:25], -v[68:69]
	v_fma_f64 v[66:67], v[66:67], s[24:25], -v[70:71]
	v_fma_f64 v[68:69], v[37:38], s[36:37], v[45:46]
	v_fma_f64 v[70:71], v[39:40], s[36:37], v[47:48]
	;; [unrolled: 1-line block ×6, first 2 shown]
	v_add_f64_e32 v[76:77], v[41:42], v[49:50]
	v_add_f64_e32 v[78:79], v[43:44], v[51:52]
	v_add_f64_e32 v[53:54], v[53:54], v[49:50]
	v_add_f64_e32 v[55:56], v[55:56], v[51:52]
	v_add_f64_e32 v[49:50], v[64:65], v[49:50]
	v_add_f64_e32 v[51:52], v[66:67], v[51:52]
	v_and_b32_e32 v64, 0xffff, v100
	s_delay_alu instid0(VALU_DEP_1) | instskip(NEXT) | instid1(VALU_DEP_1)
	v_mul_u32_u24_e32 v64, 21, v64
	v_add_lshl_u32 v64, v64, v101, 6
	s_delay_alu instid0(VALU_DEP_1)
	v_add3_u32 v64, 0, v64, v63
	v_add_f64_e32 v[33:34], v[70:71], v[76:77]
	v_add_f64_e64 v[35:36], v[78:79], -v[68:69]
	v_add_f64_e32 v[37:38], v[74:75], v[53:54]
	v_add_f64_e64 v[39:40], v[55:56], -v[72:73]
	v_add_f64_e64 v[41:42], v[49:50], -v[45:46]
	v_add_f64_e32 v[43:44], v[47:48], v[51:52]
	v_add_f64_e32 v[45:46], v[45:46], v[49:50]
	v_add_f64_e64 v[47:48], v[51:52], -v[47:48]
	v_add_f64_e64 v[49:50], v[53:54], -v[74:75]
	v_add_f64_e32 v[51:52], v[72:73], v[55:56]
	v_add_f64_e64 v[53:54], v[76:77], -v[70:71]
	v_add_f64_e32 v[55:56], v[68:69], v[78:79]
	ds_store_b128 v64, v[29:32]
	ds_store_b128 v64, v[33:36] offset:192
	ds_store_b128 v64, v[37:40] offset:384
	;; [unrolled: 1-line block ×6, first 2 shown]
	s_and_saveexec_b32 s38, vcc_lo
	s_cbranch_execz .LBB0_20
; %bb.19:
	v_and_b32_e32 v29, 0xffff, v60
	s_delay_alu instid0(VALU_DEP_1) | instskip(NEXT) | instid1(VALU_DEP_1)
	v_mul_u32_u24_e32 v29, 0xaaab, v29
	v_lshrrev_b32_e32 v29, 17, v29
	s_delay_alu instid0(VALU_DEP_1) | instskip(NEXT) | instid1(VALU_DEP_1)
	v_mul_lo_u16 v29, v29, 3
	v_sub_nc_u16 v29, v60, v29
	s_delay_alu instid0(VALU_DEP_1) | instskip(NEXT) | instid1(VALU_DEP_1)
	v_and_b32_e32 v72, 0xffff, v29
	v_mul_u32_u24_e32 v29, 6, v72
	s_delay_alu instid0(VALU_DEP_1)
	v_lshlrev_b32_e32 v49, 4, v29
	s_clause 0x5
	global_load_b128 v[29:32], v49, s[2:3] offset:16
	global_load_b128 v[33:36], v49, s[2:3] offset:64
	global_load_b128 v[37:40], v49, s[2:3]
	global_load_b128 v[41:44], v49, s[2:3] offset:80
	global_load_b128 v[45:48], v49, s[2:3] offset:48
	;; [unrolled: 1-line block ×3, first 2 shown]
	s_wait_loadcnt 0x5
	v_mul_f64_e32 v[53:54], v[9:10], v[31:32]
	s_wait_loadcnt 0x4
	v_mul_f64_e32 v[55:56], v[21:22], v[35:36]
	;; [unrolled: 2-line block ×4, first 2 shown]
	v_mul_f64_e32 v[31:32], v[11:12], v[31:32]
	v_mul_f64_e32 v[35:36], v[23:24], v[35:36]
	;; [unrolled: 1-line block ×4, first 2 shown]
	s_wait_loadcnt 0x1
	v_mul_f64_e32 v[68:69], v[19:20], v[47:48]
	s_wait_loadcnt 0x0
	v_mul_f64_e32 v[70:71], v[15:16], v[51:52]
	v_mul_f64_e32 v[51:52], v[13:14], v[51:52]
	;; [unrolled: 1-line block ×3, first 2 shown]
	v_fma_f64 v[11:12], v[11:12], v[29:30], v[53:54]
	v_fma_f64 v[23:24], v[23:24], v[33:34], v[55:56]
	;; [unrolled: 1-line block ×4, first 2 shown]
	v_fma_f64 v[9:10], v[9:10], v[29:30], -v[31:32]
	v_fma_f64 v[21:22], v[21:22], v[33:34], -v[35:36]
	;; [unrolled: 1-line block ×6, first 2 shown]
	v_fma_f64 v[15:16], v[15:16], v[49:50], v[51:52]
	v_fma_f64 v[19:20], v[19:20], v[45:46], v[47:48]
	v_add_f64_e32 v[29:30], v[11:12], v[23:24]
	v_add_f64_e64 v[11:12], v[11:12], -v[23:24]
	v_add_f64_e32 v[31:32], v[7:8], v[27:28]
	v_add_f64_e64 v[7:8], v[7:8], -v[27:28]
	;; [unrolled: 2-line block ×4, first 2 shown]
	v_add_f64_e64 v[37:38], v[17:18], -v[13:14]
	v_add_f64_e32 v[13:14], v[13:14], v[17:18]
	v_add_f64_e32 v[21:22], v[15:16], v[19:20]
	v_add_f64_e64 v[15:16], v[19:20], -v[15:16]
	v_add_f64_e32 v[17:18], v[29:30], v[31:32]
	v_add_f64_e64 v[43:44], v[11:12], -v[7:8]
	;; [unrolled: 2-line block ×3, first 2 shown]
	v_add_f64_e64 v[23:24], v[37:38], -v[9:10]
	v_add_f64_e64 v[27:28], v[35:36], -v[13:14]
	;; [unrolled: 1-line block ×4, first 2 shown]
	v_add_f64_e32 v[9:10], v[37:38], v[9:10]
	v_add_f64_e64 v[37:38], v[5:6], -v[37:38]
	v_add_f64_e32 v[11:12], v[15:16], v[11:12]
	v_add_f64_e64 v[15:16], v[7:8], -v[15:16]
	;; [unrolled: 2-line block ×3, first 2 shown]
	v_add_f64_e64 v[29:30], v[29:30], -v[31:32]
	v_mul_f64_e32 v[47:48], s[8:9], v[43:44]
	v_add_f64_e32 v[19:20], v[13:14], v[19:20]
	v_add_f64_e64 v[13:14], v[13:14], -v[33:34]
	v_mul_f64_e32 v[23:24], s[20:21], v[23:24]
	v_mul_f64_e32 v[27:28], s[10:11], v[27:28]
	;; [unrolled: 1-line block ×5, first 2 shown]
	v_add_f64_e64 v[33:34], v[33:34], -v[35:36]
	v_add_f64_e32 v[5:6], v[9:10], v[5:6]
	v_add_f64_e32 v[7:8], v[11:12], v[7:8]
	;; [unrolled: 1-line block ×3, first 2 shown]
	v_mul_f64_e32 v[31:32], s[26:27], v[21:22]
	v_add_f64_e32 v[1:2], v[1:2], v[19:20]
	v_mul_f64_e32 v[35:36], s[26:27], v[13:14]
	v_fma_f64 v[9:10], v[37:38], s[30:31], v[23:24]
	v_fma_f64 v[13:14], v[13:14], s[26:27], v[27:28]
	;; [unrolled: 1-line block ×3, first 2 shown]
	v_fma_f64 v[21:22], v[37:38], s[34:35], -v[45:46]
	v_fma_f64 v[23:24], v[39:40], s[8:9], -v[23:24]
	;; [unrolled: 1-line block ×5, first 2 shown]
	v_fma_f64 v[17:18], v[17:18], s[22:23], v[3:4]
	v_fma_f64 v[29:30], v[29:30], s[24:25], -v[31:32]
	v_fma_f64 v[31:32], v[15:16], s[30:31], v[41:42]
	v_fma_f64 v[15:16], v[15:16], s[34:35], -v[47:48]
	v_fma_f64 v[19:20], v[19:20], s[22:23], v[1:2]
	v_fma_f64 v[33:34], v[33:34], s[24:25], -v[35:36]
	v_fma_f64 v[9:10], v[5:6], s[36:37], v[9:10]
	v_fma_f64 v[21:22], v[5:6], s[36:37], v[21:22]
	;; [unrolled: 1-line block ×4, first 2 shown]
	v_add_f64_e32 v[35:36], v[11:12], v[17:18]
	v_add_f64_e32 v[23:24], v[25:26], v[17:18]
	;; [unrolled: 1-line block ×3, first 2 shown]
	v_fma_f64 v[29:30], v[7:8], s[36:37], v[31:32]
	v_add_f64_e32 v[39:40], v[13:14], v[19:20]
	v_fma_f64 v[31:32], v[7:8], s[36:37], v[15:16]
	v_add_f64_e32 v[41:42], v[27:28], v[19:20]
	v_add_f64_e32 v[13:14], v[33:34], v[19:20]
	v_and_b32_e32 v33, 0xff, v60
	v_add_f64_e64 v[27:28], v[35:36], -v[9:10]
	v_add_f64_e32 v[11:12], v[21:22], v[23:24]
	v_add_f64_e64 v[23:24], v[23:24], -v[21:22]
	v_add_f64_e64 v[15:16], v[17:18], -v[5:6]
	v_add_f64_e32 v[25:26], v[29:30], v[39:40]
	v_add_f64_e32 v[19:20], v[5:6], v[17:18]
	;; [unrolled: 1-line block ×3, first 2 shown]
	v_add_f64_e64 v[17:18], v[13:14], -v[37:38]
	v_add_f64_e32 v[13:14], v[37:38], v[13:14]
	v_add_f64_e32 v[7:8], v[9:10], v[35:36]
	v_add_f64_e64 v[9:10], v[41:42], -v[31:32]
	v_add_f64_e64 v[5:6], v[39:40], -v[29:30]
	v_mul_lo_u16 v29, 0xab, v33
	s_delay_alu instid0(VALU_DEP_1) | instskip(NEXT) | instid1(VALU_DEP_1)
	v_lshrrev_b16 v29, 9, v29
	v_and_b32_e32 v29, 0xffff, v29
	s_delay_alu instid0(VALU_DEP_1) | instskip(NEXT) | instid1(VALU_DEP_1)
	v_mul_u32_u24_e32 v29, 21, v29
	v_add_lshl_u32 v29, v29, v72, 6
	s_delay_alu instid0(VALU_DEP_1)
	v_add3_u32 v29, 0, v29, v63
	ds_store_b128 v29, v[1:4]
	ds_store_b128 v29, v[25:28] offset:192
	ds_store_b128 v29, v[21:24] offset:384
	;; [unrolled: 1-line block ×6, first 2 shown]
.LBB0_20:
	s_or_b32 exec_lo, exec_lo, s38
	v_mul_lo_u16 v1, v61, 49
	global_wb scope:SCOPE_SE
	s_wait_dscnt 0x0
	s_barrier_signal -1
	s_barrier_wait -1
	global_inv scope:SCOPE_SE
	v_lshrrev_b16 v56, 10, v1
	v_lshlrev_b32_e32 v3, 6, v60
	v_add_nc_u32_e32 v2, 0x7e, v61
	s_mov_b32 s8, 0x667f3bcd
	s_mov_b32 s9, 0xbfe6a09e
	v_mul_lo_u16 v1, v56, 21
	v_add3_u32 v5, 0, v3, v63
	s_mov_b32 s11, 0x3fe6a09e
	s_wait_alu 0xfffe
	s_mov_b32 s10, s8
	v_cmp_gt_u64_e32 vcc_lo, s[18:19], v[57:58]
	v_sub_nc_u16 v1, v61, v1
	s_delay_alu instid0(VALU_DEP_1) | instskip(NEXT) | instid1(VALU_DEP_1)
	v_and_b32_e32 v84, 0xff, v1
	v_mul_u32_u24_e32 v1, 7, v84
	s_delay_alu instid0(VALU_DEP_1)
	v_lshlrev_b32_e32 v1, 4, v1
	s_clause 0x6
	global_load_b128 v[6:9], v1, s[2:3] offset:288
	global_load_b128 v[10:13], v1, s[2:3] offset:304
	global_load_b128 v[14:17], v1, s[2:3] offset:336
	global_load_b128 v[18:21], v1, s[2:3] offset:368
	global_load_b128 v[22:25], v1, s[2:3] offset:352
	global_load_b128 v[26:29], v1, s[2:3] offset:320
	global_load_b128 v[30:33], v1, s[2:3] offset:384
	v_add_nc_u32_e32 v1, 0x54, v61
	s_delay_alu instid0(VALU_DEP_1) | instskip(NEXT) | instid1(VALU_DEP_1)
	v_lshlrev_b32_e32 v4, 6, v1
	v_add3_u32 v3, 0, v4, v63
	v_lshlrev_b32_e32 v4, 6, v2
	ds_load_b128 v[34:37], v5
	ds_load_b128 v[38:41], v3
	ds_load_b128 v[42:45], v62 offset:10752
	v_add3_u32 v4, 0, v4, v63
	ds_load_b128 v[46:49], v62 offset:16128
	ds_load_b128 v[50:53], v62 offset:13440
	ds_load_b128 v[64:67], v4
	ds_load_b128 v[68:71], v62 offset:18816
	s_wait_loadcnt_dscnt 0x606
	v_mul_f64_e32 v[54:55], v[36:37], v[8:9]
	v_mul_f64_e32 v[8:9], v[34:35], v[8:9]
	s_wait_loadcnt_dscnt 0x505
	v_mul_f64_e32 v[72:73], v[40:41], v[12:13]
	v_mul_f64_e32 v[12:13], v[38:39], v[12:13]
	;; [unrolled: 3-line block ×7, first 2 shown]
	v_fma_f64 v[34:35], v[34:35], v[6:7], -v[54:55]
	v_fma_f64 v[36:37], v[36:37], v[6:7], v[8:9]
	v_fma_f64 v[38:39], v[38:39], v[10:11], -v[72:73]
	v_fma_f64 v[10:11], v[40:41], v[10:11], v[12:13]
	;; [unrolled: 2-line block ×7, first 2 shown]
	ds_load_b128 v[6:9], v62
	global_wb scope:SCOPE_SE
	s_wait_dscnt 0x0
	s_barrier_signal -1
	s_barrier_wait -1
	global_inv scope:SCOPE_SE
	v_add_f64_e64 v[12:13], v[6:7], -v[12:13]
	v_add_f64_e64 v[14:15], v[8:9], -v[14:15]
	;; [unrolled: 1-line block ×8, first 2 shown]
	v_fma_f64 v[6:7], v[6:7], 2.0, -v[12:13]
	v_fma_f64 v[8:9], v[8:9], 2.0, -v[14:15]
	;; [unrolled: 1-line block ×6, first 2 shown]
	v_add_f64_e64 v[38:39], v[12:13], -v[18:19]
	v_add_f64_e32 v[40:41], v[14:15], v[16:17]
	v_fma_f64 v[16:17], v[24:25], 2.0, -v[28:29]
	v_fma_f64 v[18:19], v[26:27], 2.0, -v[30:31]
	v_add_f64_e64 v[24:25], v[20:21], -v[30:31]
	v_add_f64_e32 v[26:27], v[22:23], v[28:29]
	v_add_f64_e64 v[28:29], v[6:7], -v[32:33]
	v_add_f64_e64 v[30:31], v[8:9], -v[10:11]
	v_fma_f64 v[42:43], v[12:13], 2.0, -v[38:39]
	v_fma_f64 v[44:45], v[14:15], 2.0, -v[40:41]
	v_add_f64_e64 v[10:11], v[34:35], -v[16:17]
	v_add_f64_e64 v[12:13], v[36:37], -v[18:19]
	v_fma_f64 v[20:21], v[20:21], 2.0, -v[24:25]
	v_fma_f64 v[18:19], v[22:23], 2.0, -v[26:27]
	s_wait_alu 0xfffe
	v_fma_f64 v[14:15], v[24:25], s[10:11], v[38:39]
	v_fma_f64 v[16:17], v[26:27], s[10:11], v[40:41]
	v_fma_f64 v[32:33], v[6:7], 2.0, -v[28:29]
	v_fma_f64 v[46:47], v[8:9], 2.0, -v[30:31]
	;; [unrolled: 1-line block ×4, first 2 shown]
	v_fma_f64 v[36:37], v[20:21], s[8:9], v[42:43]
	v_fma_f64 v[48:49], v[18:19], s[8:9], v[44:45]
	v_add_f64_e64 v[6:7], v[28:29], -v[12:13]
	v_add_f64_e32 v[8:9], v[30:31], v[10:11]
	v_fma_f64 v[10:11], v[26:27], s[8:9], v[14:15]
	v_fma_f64 v[12:13], v[24:25], s[10:11], v[16:17]
	v_add_f64_e64 v[14:15], v[32:33], -v[22:23]
	v_add_f64_e64 v[16:17], v[46:47], -v[34:35]
	v_fma_f64 v[18:19], v[18:19], s[8:9], v[36:37]
	v_fma_f64 v[20:21], v[20:21], s[10:11], v[48:49]
	v_fma_f64 v[22:23], v[28:29], 2.0, -v[6:7]
	v_fma_f64 v[24:25], v[30:31], 2.0, -v[8:9]
	;; [unrolled: 1-line block ×4, first 2 shown]
	v_and_b32_e32 v38, 0xffff, v56
	s_or_b32 s8, s33, vcc_lo
	s_delay_alu instid0(VALU_DEP_1) | instskip(NEXT) | instid1(VALU_DEP_1)
	v_mul_u32_u24_e32 v38, 0xa8, v38
	v_add_lshl_u32 v38, v38, v84, 6
	s_delay_alu instid0(VALU_DEP_1)
	v_add3_u32 v38, 0, v38, v63
	v_fma_f64 v[30:31], v[32:33], 2.0, -v[14:15]
	v_fma_f64 v[32:33], v[46:47], 2.0, -v[16:17]
	;; [unrolled: 1-line block ×4, first 2 shown]
	ds_store_b128 v38, v[6:9] offset:8064
	ds_store_b128 v38, v[10:13] offset:9408
	;; [unrolled: 1-line block ×6, first 2 shown]
	ds_store_b128 v38, v[30:33]
	ds_store_b128 v38, v[34:37] offset:1344
	global_wb scope:SCOPE_SE
	s_wait_dscnt 0x0
	s_barrier_signal -1
	s_barrier_wait -1
	global_inv scope:SCOPE_SE
	s_wait_alu 0xfffe
	s_and_saveexec_b32 s9, s8
	s_cbranch_execz .LBB0_22
; %bb.21:
	v_add_nc_u32_e32 v6, 0xffffff82, v61
	v_cmp_gt_u32_e32 vcc_lo, 0x1f8, v0
	v_mov_b32_e32 v108, 0
	v_add_nc_u32_e32 v10, 0xffffff58, v61
	v_mul_u32_u24_e32 v14, 0x187, v2
	v_mul_u32_u24_e32 v18, 0x187, v1
	s_wait_alu 0xfffd
	v_cndmask_b32_e32 v107, v6, v60, vcc_lo
	s_mul_u64 s[6:7], s[6:7], s[14:15]
	v_mov_b32_e32 v110, v108
	v_lshrrev_b32_e32 v14, 16, v14
	v_lshrrev_b32_e32 v18, 16, v18
	v_lshlrev_b64_e32 v[6:7], 4, v[107:108]
	v_mul_lo_u32 v22, v57, v107
	v_add_nc_u32_e32 v30, 0xa8, v107
	v_mul_lo_u16 v14, 0xa8, v14
	v_mul_lo_u16 v18, 0xa8, v18
	s_lshl_b64 s[6:7], s[6:7], 4
	v_add_co_u32 v6, vcc_lo, s2, v6
	s_wait_alu 0xfffd
	v_add_co_ci_u32_e32 v7, vcc_lo, s3, v7, vcc_lo
	v_cmp_gt_u32_e32 vcc_lo, 0x2a0, v0
	v_sub_nc_u16 v14, v2, v14
	v_sub_nc_u16 v18, v1, v18
	global_load_b128 v[6:9], v[6:7], off offset:2640
	s_wait_alu 0xfffd
	v_dual_cndmask_b32 v109, v10, v61 :: v_dual_and_b32 v24, 0xff, v22
	v_and_b32_e32 v112, 0xffff, v14
	v_and_b32_e32 v113, 0xffff, v18
	v_lshrrev_b32_e32 v22, 4, v22
	s_delay_alu instid0(VALU_DEP_4)
	v_lshlrev_b32_e32 v24, 4, v24
	v_lshlrev_b64_e32 v[10:11], 4, v[109:110]
	v_lshlrev_b32_e32 v14, 4, v112
	v_lshlrev_b32_e32 v18, 4, v113
	v_mul_lo_u32 v23, v57, v109
	v_and_b32_e32 v26, 0xff0, v22
	v_mul_lo_u32 v38, v57, v30
	v_add_co_u32 v10, vcc_lo, s2, v10
	s_wait_alu 0xfffd
	v_add_co_ci_u32_e32 v11, vcc_lo, s3, v11, vcc_lo
	s_clause 0x1
	global_load_b128 v[14:17], v14, s[2:3] offset:2640
	global_load_b128 v[18:21], v18, s[2:3] offset:2640
	s_load_b64 s[2:3], s[0:1], 0x8
	global_load_b128 v[10:13], v[10:11], off offset:2640
	v_and_b32_e32 v31, 0xff, v23
	v_lshrrev_b32_e32 v32, 4, v23
	v_add_nc_u32_e32 v39, 0xa8, v109
	v_and_b32_e32 v40, 0xff, v38
	v_lshrrev_b32_e32 v38, 4, v38
	v_lshlrev_b32_e32 v31, 4, v31
	v_and_b32_e32 v34, 0xff0, v32
	v_mul_lo_u32 v46, v57, v39
	v_lshlrev_b32_e32 v39, 4, v40
	v_and_b32_e32 v42, 0xff0, v38
	v_add_nc_u32_e32 v54, 0xa8, v112
	v_add_nc_u32_e32 v56, 0xa8, v113
	s_wait_kmcnt 0x0
	s_clause 0x5
	global_load_b128 v[22:25], v24, s[2:3]
	global_load_b128 v[26:29], v26, s[2:3] offset:4096
	global_load_b128 v[30:33], v31, s[2:3]
	global_load_b128 v[34:37], v34, s[2:3] offset:4096
	global_load_b128 v[38:41], v39, s[2:3]
	global_load_b128 v[42:45], v42, s[2:3] offset:4096
	v_and_b32_e32 v47, 0xff, v46
	v_lshrrev_b32_e32 v46, 4, v46
	v_mul_lo_u32 v55, v57, v112
	v_mul_lo_u32 v54, v57, v54
	;; [unrolled: 1-line block ×3, first 2 shown]
	v_lshlrev_b32_e32 v47, 4, v47
	v_and_b32_e32 v50, 0xff0, v46
	s_clause 0x1
	global_load_b128 v[46:49], v47, s[2:3]
	global_load_b128 v[50:53], v50, s[2:3] offset:4096
	v_mul_lo_u32 v58, v57, v113
	v_and_b32_e32 v57, 0xff, v55
	v_and_b32_e32 v63, 0xff, v54
	v_lshrrev_b32_e32 v55, 4, v55
	v_lshrrev_b32_e32 v54, 4, v54
	v_and_b32_e32 v67, 0xff, v56
	v_lshrrev_b32_e32 v68, 4, v56
	v_lshlrev_b32_e32 v57, 4, v57
	v_and_b32_e32 v61, 0xff, v58
	v_lshrrev_b32_e32 v58, 4, v58
	v_lshlrev_b32_e32 v69, 4, v63
	v_and_b32_e32 v64, 0xff0, v55
	v_and_b32_e32 v71, 0xff0, v54
	v_lshlrev_b32_e32 v75, 4, v67
	v_and_b32_e32 v79, 0xff0, v68
	v_lshlrev_b32_e32 v61, 4, v61
	s_clause 0x1
	global_load_b128 v[54:57], v57, s[2:3]
	global_load_b128 v[63:66], v64, s[2:3] offset:4096
	v_and_b32_e32 v58, 0xff0, v58
	s_clause 0x5
	global_load_b128 v[67:70], v69, s[2:3]
	global_load_b128 v[71:74], v71, s[2:3] offset:4096
	global_load_b128 v[75:78], v75, s[2:3]
	global_load_b128 v[79:82], v79, s[2:3] offset:4096
	;; [unrolled: 2-line block ×3, first 2 shown]
	ds_load_b128 v[91:94], v62 offset:13440
	ds_load_b128 v[95:98], v62 offset:16128
	;; [unrolled: 1-line block ×3, first 2 shown]
	ds_load_b128 v[103:106], v62
	v_cmp_lt_u32_e32 vcc_lo, 0x29f, v0
	v_sub_nc_u32_e32 v58, v60, v107
	s_load_b64 s[0:1], s[0:1], 0x60
	s_mul_u64 s[2:3], s[4:5], s[16:17]
	v_cndmask_b32_e64 v0, 0, 0x150, vcc_lo
	s_delay_alu instid0(VALU_DEP_2) | instskip(SKIP_2) | instid1(VALU_DEP_1)
	v_add_nc_u32_e32 v115, v58, v60
	s_wait_alu 0xfffe
	s_lshl_b64 s[2:3], s[2:3], 4
	v_add_nc_u32_e32 v116, 0xa8, v115
	s_wait_kmcnt 0x0
	s_add_nc_u64 s[0:1], s[0:1], s[6:7]
	s_wait_alu 0xfffe
	s_add_nc_u64 s[0:1], s[0:1], s[2:3]
	s_wait_loadcnt_dscnt 0x1303
	v_mul_f64_e32 v[110:111], v[91:92], v[8:9]
	v_mul_f64_e32 v[8:9], v[93:94], v[8:9]
	s_delay_alu instid0(VALU_DEP_2) | instskip(SKIP_2) | instid1(VALU_DEP_3)
	v_fma_f64 v[93:94], v[93:94], v[6:7], v[110:111]
	s_wait_loadcnt_dscnt 0x1001
	v_mul_f64_e32 v[110:111], v[99:100], v[12:13]
	v_fma_f64 v[91:92], v[91:92], v[6:7], -v[8:9]
	ds_load_b128 v[6:9], v62 offset:18816
	v_mul_f64_e32 v[12:13], v[101:102], v[12:13]
	s_wait_loadcnt 0x8
	v_mul_f64_e32 v[107:108], v[48:49], v[52:53]
	v_fma_f64 v[61:62], v[101:102], v[10:11], v[110:111]
	s_wait_dscnt 0x0
	v_mul_f64_e32 v[101:102], v[6:7], v[16:17]
	v_mul_f64_e32 v[16:17], v[8:9], v[16:17]
	v_fma_f64 v[99:100], v[99:100], v[10:11], -v[12:13]
	ds_load_b128 v[10:13], v5
	v_mul_f64_e32 v[110:111], v[95:96], v[20:21]
	s_wait_dscnt 0x0
	v_add_f64_e64 v[91:92], v[10:11], -v[91:92]
	v_add_f64_e64 v[93:94], v[12:13], -v[93:94]
	;; [unrolled: 1-line block ×3, first 2 shown]
	v_fma_f64 v[8:9], v[8:9], v[14:15], v[101:102]
	v_fma_f64 v[101:102], v[6:7], v[14:15], -v[16:17]
	v_mul_f64_e32 v[5:6], v[97:98], v[20:21]
	v_mul_f64_e32 v[14:15], v[24:25], v[28:29]
	;; [unrolled: 1-line block ×3, first 2 shown]
	v_fma_f64 v[28:29], v[97:98], v[18:19], v[110:111]
	v_mul_f64_e32 v[20:21], v[32:33], v[36:37]
	v_mul_f64_e32 v[36:37], v[30:31], v[36:37]
	v_mad_co_u64_u32 v[97:98], null, s4, v59, 0
	v_add_nc_u32_e32 v111, v109, v0
	s_delay_alu instid0(VALU_DEP_1) | instskip(NEXT) | instid1(VALU_DEP_3)
	v_add_nc_u32_e32 v114, 0xa8, v111
	v_mov_b32_e32 v0, v98
	v_fma_f64 v[18:19], v[95:96], v[18:19], -v[5:6]
	v_mul_f64_e32 v[95:96], v[40:41], v[44:45]
	v_mul_f64_e32 v[44:45], v[38:39], v[44:45]
	v_fma_f64 v[109:110], v[22:23], v[26:27], -v[14:15]
	v_fma_f64 v[22:23], v[24:25], v[26:27], v[16:17]
	v_mul_f64_e32 v[24:25], v[46:47], v[52:53]
	ds_load_b128 v[4:7], v4
	ds_load_b128 v[14:17], v3
	v_mad_co_u64_u32 v[26:27], null, s5, v59, v[0:1]
	s_wait_loadcnt 0x6
	v_mul_f64_e32 v[52:53], v[54:55], v[65:66]
	s_wait_loadcnt 0x0
	v_mul_f64_e32 v[58:59], v[83:84], v[89:90]
	v_fma_f64 v[20:21], v[30:31], v[34:35], -v[20:21]
	v_fma_f64 v[30:31], v[32:33], v[34:35], v[36:37]
	v_mad_co_u64_u32 v[32:33], null, s12, v111, 0
	v_mov_b32_e32 v98, v26
	v_mul_f64_e32 v[26:27], v[56:57], v[65:66]
	v_add_f64_e64 v[65:66], v[103:104], -v[99:100]
	v_mad_co_u64_u32 v[34:35], null, s12, v114, 0
	v_fma_f64 v[46:47], v[46:47], v[50:51], -v[107:108]
	v_mov_b32_e32 v0, v33
	v_sub_nc_u32_e32 v33, v1, v113
	v_mad_co_u64_u32 v[36:37], null, s12, v115, 0
	s_wait_dscnt 0x1
	v_add_f64_e64 v[8:9], v[6:7], -v[8:9]
	s_wait_dscnt 0x0
	v_add_f64_e64 v[28:29], v[16:17], -v[28:29]
	v_add_nc_u32_e32 v108, v33, v1
	s_delay_alu instid0(VALU_DEP_4)
	v_mov_b32_e32 v3, v37
	v_add_f64_e64 v[18:19], v[14:15], -v[18:19]
	v_fma_f64 v[38:39], v[38:39], v[42:43], -v[95:96]
	v_fma_f64 v[40:41], v[40:41], v[42:43], v[44:45]
	v_mul_f64_e32 v[42:43], v[67:68], v[73:74]
	v_mul_f64_e32 v[44:45], v[75:76], v[81:82]
	v_add_f64_e64 v[95:96], v[4:5], -v[101:102]
	v_fma_f64 v[24:25], v[48:49], v[50:51], v[24:25]
	v_lshlrev_b64_e32 v[50:51], 4, v[97:98]
	v_mad_co_u64_u32 v[97:98], null, s13, v111, v[0:1]
	v_mov_b32_e32 v0, v35
	v_mad_co_u64_u32 v[48:49], null, s12, v116, 0
	s_delay_alu instid0(VALU_DEP_4) | instskip(NEXT) | instid1(VALU_DEP_3)
	v_add_co_u32 v117, vcc_lo, s0, v50
	v_mad_co_u64_u32 v[0:1], null, s13, v114, v[0:1]
	v_mov_b32_e32 v33, v97
	v_sub_nc_u32_e32 v62, v2, v112
	s_wait_alu 0xfffd
	v_add_co_ci_u32_e32 v118, vcc_lo, s1, v51, vcc_lo
	v_mul_f64_e32 v[50:51], v[69:70], v[73:74]
	v_mul_f64_e32 v[73:74], v[77:78], v[81:82]
	v_add_nc_u32_e32 v111, v62, v2
	v_mul_f64_e32 v[1:2], v[85:86], v[89:90]
	v_fma_f64 v[54:55], v[54:55], v[63:64], -v[26:27]
	v_fma_f64 v[26:27], v[56:57], v[63:64], v[52:53]
	v_fma_f64 v[52:53], v[85:86], v[87:88], v[58:59]
	v_fma_f64 v[56:57], v[103:104], 2.0, -v[65:66]
	v_fma_f64 v[58:59], v[105:106], 2.0, -v[60:61]
	;; [unrolled: 1-line block ×5, first 2 shown]
	v_mad_co_u64_u32 v[81:82], null, s13, v115, v[3:4]
	v_mov_b32_e32 v3, v49
	v_mov_b32_e32 v35, v0
	v_mad_co_u64_u32 v[100:101], null, s12, v108, 0
	v_add_nc_u32_e32 v7, 0xa8, v108
	v_add_nc_u32_e32 v64, 0xa8, v111
	v_fma_f64 v[42:43], v[69:70], v[71:72], v[42:43]
	v_fma_f64 v[44:45], v[77:78], v[79:80], v[44:45]
	v_fma_f64 v[69:70], v[12:13], 2.0, -v[93:94]
	v_fma_f64 v[77:78], v[14:15], 2.0, -v[18:19]
	;; [unrolled: 1-line block ×3, first 2 shown]
	v_mad_co_u64_u32 v[3:4], null, s13, v116, v[3:4]
	v_lshlrev_b64_e32 v[4:5], 4, v[32:33]
	v_mul_f64_e32 v[14:15], v[93:94], v[40:41]
	v_lshlrev_b64_e32 v[10:11], 4, v[34:35]
	v_mul_f64_e32 v[34:35], v[65:66], v[24:25]
	v_mul_f64_e32 v[24:25], v[60:61], v[24:25]
	v_mov_b32_e32 v37, v81
	v_mad_co_u64_u32 v[102:103], null, s12, v111, 0
	v_mad_co_u64_u32 v[104:105], null, s12, v7, 0
	v_mov_b32_e32 v0, v101
	v_fma_f64 v[12:13], v[67:68], v[71:72], -v[50:51]
	v_fma_f64 v[16:17], v[75:76], v[79:80], -v[73:74]
	v_mad_co_u64_u32 v[106:107], null, s12, v64, 0
	v_fma_f64 v[32:33], v[83:84], v[87:88], -v[1:2]
	v_mul_f64_e32 v[1:2], v[91:92], v[40:41]
	v_mov_b32_e32 v49, v3
	v_mul_f64_e32 v[67:68], v[56:57], v[30:31]
	v_mul_f64_e32 v[30:31], v[58:59], v[30:31]
	;; [unrolled: 1-line block ×3, first 2 shown]
	v_add_co_u32 v83, vcc_lo, v117, v4
	v_mul_f64_e32 v[81:82], v[98:99], v[26:27]
	v_mov_b32_e32 v6, v103
	s_wait_alu 0xfffd
	v_add_co_ci_u32_e32 v84, vcc_lo, v118, v5, vcc_lo
	v_lshlrev_b64_e32 v[36:37], 4, v[36:37]
	v_lshlrev_b64_e32 v[48:49], 4, v[48:49]
	v_mad_co_u64_u32 v[87:88], null, s13, v111, v[6:7]
	v_mul_f64_e32 v[40:41], v[95:96], v[42:43]
	v_mul_f64_e32 v[42:43], v[8:9], v[42:43]
	;; [unrolled: 1-line block ×8, first 2 shown]
	v_add_co_u32 v111, vcc_lo, v117, v10
	s_wait_alu 0xfffd
	v_add_co_ci_u32_e32 v112, vcc_lo, v118, v11, vcc_lo
	v_mov_b32_e32 v103, v87
	v_mad_co_u64_u32 v[3:4], null, s13, v108, v[0:1]
	v_mov_b32_e32 v4, v107
	v_mov_b32_e32 v0, v105
	v_fma_f64 v[22:23], v[69:70], v[109:110], v[71:72]
	s_delay_alu instid0(VALU_DEP_3) | instskip(NEXT) | instid1(VALU_DEP_3)
	v_mad_co_u64_u32 v[113:114], null, s13, v64, v[4:5]
	v_mad_co_u64_u32 v[107:108], null, s13, v7, v[0:1]
	v_mov_b32_e32 v101, v3
	v_fma_f64 v[2:3], v[93:94], v[38:39], v[1:2]
	v_fma_f64 v[0:1], v[91:92], v[38:39], -v[14:15]
	v_fma_f64 v[6:7], v[60:61], v[46:47], v[34:35]
	v_fma_f64 v[10:11], v[8:9], v[12:13], v[40:41]
	v_fma_f64 v[8:9], v[95:96], v[12:13], -v[42:43]
	v_fma_f64 v[14:15], v[28:29], v[16:17], v[50:51]
	v_fma_f64 v[12:13], v[18:19], v[16:17], -v[44:45]
	;; [unrolled: 2-line block ×3, first 2 shown]
	v_fma_f64 v[4:5], v[65:66], v[46:47], -v[24:25]
	v_fma_f64 v[20:21], v[62:63], v[109:110], -v[73:74]
	v_fma_f64 v[26:27], v[85:86], v[32:33], v[75:76]
	v_fma_f64 v[24:25], v[77:78], v[32:33], -v[52:53]
	v_fma_f64 v[30:31], v[98:99], v[54:55], v[79:80]
	v_fma_f64 v[28:29], v[89:90], v[54:55], -v[81:82]
	v_add_co_u32 v32, vcc_lo, v117, v36
	v_lshlrev_b64_e32 v[34:35], 4, v[100:101]
	v_mov_b32_e32 v105, v107
	s_wait_alu 0xfffd
	v_add_co_ci_u32_e32 v33, vcc_lo, v118, v37, vcc_lo
	v_add_co_u32 v36, vcc_lo, v117, v48
	v_lshlrev_b64_e32 v[38:39], 4, v[102:103]
	v_mov_b32_e32 v107, v113
	s_wait_alu 0xfffd
	v_add_co_ci_u32_e32 v37, vcc_lo, v118, v49, vcc_lo
	v_lshlrev_b64_e32 v[40:41], 4, v[104:105]
	v_add_co_u32 v34, vcc_lo, v117, v34
	s_wait_alu 0xfffd
	v_add_co_ci_u32_e32 v35, vcc_lo, v118, v35, vcc_lo
	v_lshlrev_b64_e32 v[42:43], 4, v[106:107]
	v_add_co_u32 v38, vcc_lo, v117, v38
	s_wait_alu 0xfffd
	v_add_co_ci_u32_e32 v39, vcc_lo, v118, v39, vcc_lo
	v_add_co_u32 v40, vcc_lo, v117, v40
	s_wait_alu 0xfffd
	v_add_co_ci_u32_e32 v41, vcc_lo, v118, v41, vcc_lo
	;; [unrolled: 3-line block ×3, first 2 shown]
	s_clause 0x7
	global_store_b128 v[83:84], v[16:19], off
	global_store_b128 v[111:112], v[4:7], off
	;; [unrolled: 1-line block ×8, first 2 shown]
.LBB0_22:
	s_nop 0
	s_sendmsg sendmsg(MSG_DEALLOC_VGPRS)
	s_endpgm
	.section	.rodata,"a",@progbits
	.p2align	6, 0x0
	.amdhsa_kernel fft_rtc_fwd_len336_factors_3_7_8_2_wgs_168_tpt_42_dim2_dp_op_CI_CI_sbcc_twdbase8_2step_dirReg
		.amdhsa_group_segment_fixed_size 0
		.amdhsa_private_segment_fixed_size 0
		.amdhsa_kernarg_size 104
		.amdhsa_user_sgpr_count 2
		.amdhsa_user_sgpr_dispatch_ptr 0
		.amdhsa_user_sgpr_queue_ptr 0
		.amdhsa_user_sgpr_kernarg_segment_ptr 1
		.amdhsa_user_sgpr_dispatch_id 0
		.amdhsa_user_sgpr_private_segment_size 0
		.amdhsa_wavefront_size32 1
		.amdhsa_uses_dynamic_stack 0
		.amdhsa_enable_private_segment 0
		.amdhsa_system_sgpr_workgroup_id_x 1
		.amdhsa_system_sgpr_workgroup_id_y 0
		.amdhsa_system_sgpr_workgroup_id_z 0
		.amdhsa_system_sgpr_workgroup_info 0
		.amdhsa_system_vgpr_workitem_id 0
		.amdhsa_next_free_vgpr 119
		.amdhsa_next_free_sgpr 39
		.amdhsa_reserve_vcc 1
		.amdhsa_float_round_mode_32 0
		.amdhsa_float_round_mode_16_64 0
		.amdhsa_float_denorm_mode_32 3
		.amdhsa_float_denorm_mode_16_64 3
		.amdhsa_fp16_overflow 0
		.amdhsa_workgroup_processor_mode 1
		.amdhsa_memory_ordered 1
		.amdhsa_forward_progress 0
		.amdhsa_round_robin_scheduling 0
		.amdhsa_exception_fp_ieee_invalid_op 0
		.amdhsa_exception_fp_denorm_src 0
		.amdhsa_exception_fp_ieee_div_zero 0
		.amdhsa_exception_fp_ieee_overflow 0
		.amdhsa_exception_fp_ieee_underflow 0
		.amdhsa_exception_fp_ieee_inexact 0
		.amdhsa_exception_int_div_zero 0
	.end_amdhsa_kernel
	.text
.Lfunc_end0:
	.size	fft_rtc_fwd_len336_factors_3_7_8_2_wgs_168_tpt_42_dim2_dp_op_CI_CI_sbcc_twdbase8_2step_dirReg, .Lfunc_end0-fft_rtc_fwd_len336_factors_3_7_8_2_wgs_168_tpt_42_dim2_dp_op_CI_CI_sbcc_twdbase8_2step_dirReg
                                        ; -- End function
	.section	.AMDGPU.csdata,"",@progbits
; Kernel info:
; codeLenInByte = 7704
; NumSgprs: 41
; NumVgprs: 119
; ScratchSize: 0
; MemoryBound: 1
; FloatMode: 240
; IeeeMode: 1
; LDSByteSize: 0 bytes/workgroup (compile time only)
; SGPRBlocks: 5
; VGPRBlocks: 14
; NumSGPRsForWavesPerEU: 41
; NumVGPRsForWavesPerEU: 119
; Occupancy: 12
; WaveLimiterHint : 1
; COMPUTE_PGM_RSRC2:SCRATCH_EN: 0
; COMPUTE_PGM_RSRC2:USER_SGPR: 2
; COMPUTE_PGM_RSRC2:TRAP_HANDLER: 0
; COMPUTE_PGM_RSRC2:TGID_X_EN: 1
; COMPUTE_PGM_RSRC2:TGID_Y_EN: 0
; COMPUTE_PGM_RSRC2:TGID_Z_EN: 0
; COMPUTE_PGM_RSRC2:TIDIG_COMP_CNT: 0
	.text
	.p2alignl 7, 3214868480
	.fill 96, 4, 3214868480
	.type	__hip_cuid_81d3b2d7e353fef2,@object ; @__hip_cuid_81d3b2d7e353fef2
	.section	.bss,"aw",@nobits
	.globl	__hip_cuid_81d3b2d7e353fef2
__hip_cuid_81d3b2d7e353fef2:
	.byte	0                               ; 0x0
	.size	__hip_cuid_81d3b2d7e353fef2, 1

	.ident	"AMD clang version 19.0.0git (https://github.com/RadeonOpenCompute/llvm-project roc-6.4.0 25133 c7fe45cf4b819c5991fe208aaa96edf142730f1d)"
	.section	".note.GNU-stack","",@progbits
	.addrsig
	.addrsig_sym __hip_cuid_81d3b2d7e353fef2
	.amdgpu_metadata
---
amdhsa.kernels:
  - .args:
      - .actual_access:  read_only
        .address_space:  global
        .offset:         0
        .size:           8
        .value_kind:     global_buffer
      - .address_space:  global
        .offset:         8
        .size:           8
        .value_kind:     global_buffer
      - .actual_access:  read_only
        .address_space:  global
        .offset:         16
        .size:           8
        .value_kind:     global_buffer
      - .actual_access:  read_only
        .address_space:  global
        .offset:         24
        .size:           8
        .value_kind:     global_buffer
      - .actual_access:  read_only
        .address_space:  global
        .offset:         32
        .size:           8
        .value_kind:     global_buffer
      - .offset:         40
        .size:           8
        .value_kind:     by_value
      - .actual_access:  read_only
        .address_space:  global
        .offset:         48
        .size:           8
        .value_kind:     global_buffer
      - .actual_access:  read_only
        .address_space:  global
        .offset:         56
        .size:           8
        .value_kind:     global_buffer
      - .offset:         64
        .size:           4
        .value_kind:     by_value
      - .actual_access:  read_only
        .address_space:  global
        .offset:         72
        .size:           8
        .value_kind:     global_buffer
      - .actual_access:  read_only
        .address_space:  global
        .offset:         80
        .size:           8
        .value_kind:     global_buffer
      - .actual_access:  read_only
        .address_space:  global
        .offset:         88
        .size:           8
        .value_kind:     global_buffer
      - .actual_access:  write_only
        .address_space:  global
        .offset:         96
        .size:           8
        .value_kind:     global_buffer
    .group_segment_fixed_size: 0
    .kernarg_segment_align: 8
    .kernarg_segment_size: 104
    .language:       OpenCL C
    .language_version:
      - 2
      - 0
    .max_flat_workgroup_size: 168
    .name:           fft_rtc_fwd_len336_factors_3_7_8_2_wgs_168_tpt_42_dim2_dp_op_CI_CI_sbcc_twdbase8_2step_dirReg
    .private_segment_fixed_size: 0
    .sgpr_count:     41
    .sgpr_spill_count: 0
    .symbol:         fft_rtc_fwd_len336_factors_3_7_8_2_wgs_168_tpt_42_dim2_dp_op_CI_CI_sbcc_twdbase8_2step_dirReg.kd
    .uniform_work_group_size: 1
    .uses_dynamic_stack: false
    .vgpr_count:     119
    .vgpr_spill_count: 0
    .wavefront_size: 32
    .workgroup_processor_mode: 1
amdhsa.target:   amdgcn-amd-amdhsa--gfx1201
amdhsa.version:
  - 1
  - 2
...

	.end_amdgpu_metadata
